;; amdgpu-corpus repo=ROCm/rocFFT kind=compiled arch=gfx1030 opt=O3
	.text
	.amdgcn_target "amdgcn-amd-amdhsa--gfx1030"
	.amdhsa_code_object_version 6
	.protected	fft_rtc_back_len175_factors_5_5_7_wgs_245_tpt_35_half_op_CI_CI_sbrr_dirReg ; -- Begin function fft_rtc_back_len175_factors_5_5_7_wgs_245_tpt_35_half_op_CI_CI_sbrr_dirReg
	.globl	fft_rtc_back_len175_factors_5_5_7_wgs_245_tpt_35_half_op_CI_CI_sbrr_dirReg
	.p2align	8
	.type	fft_rtc_back_len175_factors_5_5_7_wgs_245_tpt_35_half_op_CI_CI_sbrr_dirReg,@function
fft_rtc_back_len175_factors_5_5_7_wgs_245_tpt_35_half_op_CI_CI_sbrr_dirReg: ; @fft_rtc_back_len175_factors_5_5_7_wgs_245_tpt_35_half_op_CI_CI_sbrr_dirReg
; %bb.0:
	s_clause 0x1
	s_load_dwordx4 s[16:19], s[4:5], 0x18
	s_load_dwordx4 s[12:15], s[4:5], 0x0
	v_mul_u32_u24_e32 v1, 0x751, v0
	v_mov_b32_e32 v9, 0
	v_mov_b32_e32 v7, 0
	v_mov_b32_e32 v8, 0
	s_load_dwordx4 s[8:11], s[4:5], 0x58
	s_waitcnt lgkmcnt(0)
	s_load_dwordx2 s[20:21], s[16:17], 0x0
	s_load_dwordx2 s[2:3], s[18:19], 0x0
	v_lshrrev_b32_e32 v1, 16, v1
	v_cmp_lt_u64_e64 s0, s[14:15], 2
	v_mad_u64_u32 v[5:6], null, s6, 7, v[1:2]
	v_mov_b32_e32 v6, v9
	v_mov_b32_e32 v1, v7
	;; [unrolled: 1-line block ×3, first 2 shown]
	s_and_b32 vcc_lo, exec_lo, s0
	v_mov_b32_e32 v3, v5
	v_mov_b32_e32 v4, v6
	s_cbranch_vccnz .LBB0_8
; %bb.1:
	s_load_dwordx2 s[0:1], s[4:5], 0x10
	v_mov_b32_e32 v7, 0
	v_mov_b32_e32 v8, 0
	s_add_u32 s6, s18, 8
	v_mov_b32_e32 v12, v6
	s_addc_u32 s7, s19, 0
	v_mov_b32_e32 v1, v7
	v_mov_b32_e32 v11, v5
	s_add_u32 s22, s16, 8
	v_mov_b32_e32 v2, v8
	s_addc_u32 s23, s17, 0
	s_mov_b64 s[26:27], 1
	s_waitcnt lgkmcnt(0)
	s_add_u32 s24, s0, 8
	s_addc_u32 s25, s1, 0
.LBB0_2:                                ; =>This Inner Loop Header: Depth=1
	s_load_dwordx2 s[28:29], s[24:25], 0x0
                                        ; implicit-def: $vgpr3_vgpr4
	s_mov_b32 s0, exec_lo
	s_waitcnt lgkmcnt(0)
	v_or_b32_e32 v10, s29, v12
	v_cmpx_ne_u64_e32 0, v[9:10]
	s_xor_b32 s1, exec_lo, s0
	s_cbranch_execz .LBB0_4
; %bb.3:                                ;   in Loop: Header=BB0_2 Depth=1
	v_cvt_f32_u32_e32 v3, s28
	v_cvt_f32_u32_e32 v4, s29
	s_sub_u32 s0, 0, s28
	s_subb_u32 s30, 0, s29
	v_fmac_f32_e32 v3, 0x4f800000, v4
	v_rcp_f32_e32 v3, v3
	v_mul_f32_e32 v3, 0x5f7ffffc, v3
	v_mul_f32_e32 v4, 0x2f800000, v3
	v_trunc_f32_e32 v4, v4
	v_fmac_f32_e32 v3, 0xcf800000, v4
	v_cvt_u32_f32_e32 v4, v4
	v_cvt_u32_f32_e32 v3, v3
	v_mul_lo_u32 v6, s0, v4
	v_mul_hi_u32 v10, s0, v3
	v_mul_lo_u32 v13, s30, v3
	v_add_nc_u32_e32 v6, v10, v6
	v_mul_lo_u32 v10, s0, v3
	v_add_nc_u32_e32 v6, v6, v13
	v_mul_hi_u32 v13, v3, v10
	v_mul_lo_u32 v14, v3, v6
	v_mul_hi_u32 v15, v3, v6
	v_mul_hi_u32 v16, v4, v10
	v_mul_lo_u32 v10, v4, v10
	v_mul_hi_u32 v17, v4, v6
	v_mul_lo_u32 v6, v4, v6
	v_add_co_u32 v13, vcc_lo, v13, v14
	v_add_co_ci_u32_e32 v14, vcc_lo, 0, v15, vcc_lo
	v_add_co_u32 v10, vcc_lo, v13, v10
	v_add_co_ci_u32_e32 v10, vcc_lo, v14, v16, vcc_lo
	v_add_co_ci_u32_e32 v13, vcc_lo, 0, v17, vcc_lo
	v_add_co_u32 v6, vcc_lo, v10, v6
	v_add_co_ci_u32_e32 v10, vcc_lo, 0, v13, vcc_lo
	v_add_co_u32 v3, vcc_lo, v3, v6
	v_add_co_ci_u32_e32 v4, vcc_lo, v4, v10, vcc_lo
	v_mul_hi_u32 v6, s0, v3
	v_mul_lo_u32 v13, s30, v3
	v_mul_lo_u32 v10, s0, v4
	v_add_nc_u32_e32 v6, v6, v10
	v_mul_lo_u32 v10, s0, v3
	v_add_nc_u32_e32 v6, v6, v13
	v_mul_hi_u32 v13, v3, v10
	v_mul_lo_u32 v14, v3, v6
	v_mul_hi_u32 v15, v3, v6
	v_mul_hi_u32 v16, v4, v10
	v_mul_lo_u32 v10, v4, v10
	v_mul_hi_u32 v17, v4, v6
	v_mul_lo_u32 v6, v4, v6
	v_add_co_u32 v13, vcc_lo, v13, v14
	v_add_co_ci_u32_e32 v14, vcc_lo, 0, v15, vcc_lo
	v_add_co_u32 v10, vcc_lo, v13, v10
	v_add_co_ci_u32_e32 v10, vcc_lo, v14, v16, vcc_lo
	v_add_co_ci_u32_e32 v13, vcc_lo, 0, v17, vcc_lo
	v_add_co_u32 v6, vcc_lo, v10, v6
	v_add_co_ci_u32_e32 v10, vcc_lo, 0, v13, vcc_lo
	v_add_co_u32 v6, vcc_lo, v3, v6
	v_add_co_ci_u32_e32 v10, vcc_lo, v4, v10, vcc_lo
	v_mul_hi_u32 v17, v11, v6
	v_mad_u64_u32 v[13:14], null, v12, v6, 0
	v_mad_u64_u32 v[3:4], null, v11, v10, 0
	v_mad_u64_u32 v[15:16], null, v12, v10, 0
	v_add_co_u32 v3, vcc_lo, v17, v3
	v_add_co_ci_u32_e32 v4, vcc_lo, 0, v4, vcc_lo
	v_add_co_u32 v3, vcc_lo, v3, v13
	v_add_co_ci_u32_e32 v3, vcc_lo, v4, v14, vcc_lo
	v_add_co_ci_u32_e32 v4, vcc_lo, 0, v16, vcc_lo
	v_add_co_u32 v6, vcc_lo, v3, v15
	v_add_co_ci_u32_e32 v10, vcc_lo, 0, v4, vcc_lo
	v_mul_lo_u32 v13, s29, v6
	v_mad_u64_u32 v[3:4], null, s28, v6, 0
	v_mul_lo_u32 v14, s28, v10
	v_sub_co_u32 v3, vcc_lo, v11, v3
	v_add3_u32 v4, v4, v14, v13
	v_sub_nc_u32_e32 v13, v12, v4
	v_subrev_co_ci_u32_e64 v13, s0, s29, v13, vcc_lo
	v_add_co_u32 v14, s0, v6, 2
	v_add_co_ci_u32_e64 v15, s0, 0, v10, s0
	v_sub_co_u32 v16, s0, v3, s28
	v_sub_co_ci_u32_e32 v4, vcc_lo, v12, v4, vcc_lo
	v_subrev_co_ci_u32_e64 v13, s0, 0, v13, s0
	v_cmp_le_u32_e32 vcc_lo, s28, v16
	v_cmp_eq_u32_e64 s0, s29, v4
	v_cndmask_b32_e64 v16, 0, -1, vcc_lo
	v_cmp_le_u32_e32 vcc_lo, s29, v13
	v_cndmask_b32_e64 v17, 0, -1, vcc_lo
	v_cmp_le_u32_e32 vcc_lo, s28, v3
	;; [unrolled: 2-line block ×3, first 2 shown]
	v_cndmask_b32_e64 v18, 0, -1, vcc_lo
	v_cmp_eq_u32_e32 vcc_lo, s29, v13
	v_cndmask_b32_e64 v3, v18, v3, s0
	v_cndmask_b32_e32 v13, v17, v16, vcc_lo
	v_add_co_u32 v16, vcc_lo, v6, 1
	v_add_co_ci_u32_e32 v17, vcc_lo, 0, v10, vcc_lo
	v_cmp_ne_u32_e32 vcc_lo, 0, v13
	v_cndmask_b32_e32 v4, v17, v15, vcc_lo
	v_cndmask_b32_e32 v13, v16, v14, vcc_lo
	v_cmp_ne_u32_e32 vcc_lo, 0, v3
	v_cndmask_b32_e32 v4, v10, v4, vcc_lo
	v_cndmask_b32_e32 v3, v6, v13, vcc_lo
.LBB0_4:                                ;   in Loop: Header=BB0_2 Depth=1
	s_andn2_saveexec_b32 s0, s1
	s_cbranch_execz .LBB0_6
; %bb.5:                                ;   in Loop: Header=BB0_2 Depth=1
	v_cvt_f32_u32_e32 v3, s28
	s_sub_i32 s1, 0, s28
	v_rcp_iflag_f32_e32 v3, v3
	v_mul_f32_e32 v3, 0x4f7ffffe, v3
	v_cvt_u32_f32_e32 v3, v3
	v_mul_lo_u32 v4, s1, v3
	v_mul_hi_u32 v4, v3, v4
	v_add_nc_u32_e32 v3, v3, v4
	v_mul_hi_u32 v3, v11, v3
	v_mul_lo_u32 v4, v3, s28
	v_add_nc_u32_e32 v6, 1, v3
	v_sub_nc_u32_e32 v4, v11, v4
	v_subrev_nc_u32_e32 v10, s28, v4
	v_cmp_le_u32_e32 vcc_lo, s28, v4
	v_cndmask_b32_e32 v4, v4, v10, vcc_lo
	v_cndmask_b32_e32 v3, v3, v6, vcc_lo
	v_cmp_le_u32_e32 vcc_lo, s28, v4
	v_add_nc_u32_e32 v6, 1, v3
	v_mov_b32_e32 v4, v9
	v_cndmask_b32_e32 v3, v3, v6, vcc_lo
.LBB0_6:                                ;   in Loop: Header=BB0_2 Depth=1
	s_or_b32 exec_lo, exec_lo, s0
	v_mul_lo_u32 v6, v4, s28
	v_mul_lo_u32 v10, v3, s29
	s_load_dwordx2 s[0:1], s[22:23], 0x0
	v_mad_u64_u32 v[13:14], null, v3, s28, 0
	s_load_dwordx2 s[28:29], s[6:7], 0x0
	s_add_u32 s26, s26, 1
	s_addc_u32 s27, s27, 0
	s_add_u32 s6, s6, 8
	s_addc_u32 s7, s7, 0
	s_add_u32 s22, s22, 8
	v_add3_u32 v6, v14, v10, v6
	v_sub_co_u32 v10, vcc_lo, v11, v13
	s_addc_u32 s23, s23, 0
	s_add_u32 s24, s24, 8
	v_sub_co_ci_u32_e32 v6, vcc_lo, v12, v6, vcc_lo
	s_addc_u32 s25, s25, 0
	s_waitcnt lgkmcnt(0)
	v_mul_lo_u32 v11, s0, v6
	v_mul_lo_u32 v12, s1, v10
	v_mad_u64_u32 v[7:8], null, s0, v10, v[7:8]
	v_mul_lo_u32 v6, s28, v6
	v_mul_lo_u32 v13, s29, v10
	v_mad_u64_u32 v[1:2], null, s28, v10, v[1:2]
	v_cmp_ge_u64_e64 s0, s[26:27], s[14:15]
	v_add3_u32 v8, v12, v8, v11
	v_add3_u32 v2, v13, v2, v6
	s_and_b32 vcc_lo, exec_lo, s0
	s_cbranch_vccnz .LBB0_8
; %bb.7:                                ;   in Loop: Header=BB0_2 Depth=1
	v_mov_b32_e32 v12, v4
	v_mov_b32_e32 v11, v3
	s_branch .LBB0_2
.LBB0_8:
	s_load_dwordx2 s[0:1], s[4:5], 0x28
	v_mul_hi_u32 v14, 0x7507508, v0
	s_lshl_b64 s[6:7], s[14:15], 3
                                        ; implicit-def: $vgpr11
	s_add_u32 s4, s18, s6
	s_addc_u32 s5, s19, s7
	s_waitcnt lgkmcnt(0)
	v_cmp_gt_u64_e32 vcc_lo, s[0:1], v[3:4]
	v_cmp_le_u64_e64 s0, s[0:1], v[3:4]
	s_and_saveexec_b32 s1, s0
	s_xor_b32 s0, exec_lo, s1
; %bb.9:
	v_mul_u32_u24_e32 v6, 35, v14
                                        ; implicit-def: $vgpr14
                                        ; implicit-def: $vgpr7_vgpr8
	v_sub_nc_u32_e32 v11, v0, v6
                                        ; implicit-def: $vgpr0
; %bb.10:
	s_or_saveexec_b32 s1, s0
                                        ; implicit-def: $vgpr6
                                        ; implicit-def: $vgpr9
                                        ; implicit-def: $vgpr13
                                        ; implicit-def: $vgpr12
                                        ; implicit-def: $vgpr10
	s_xor_b32 exec_lo, exec_lo, s1
	s_cbranch_execz .LBB0_12
; %bb.11:
	s_add_u32 s6, s16, s6
	s_addc_u32 s7, s17, s7
	v_mul_u32_u24_e32 v6, 35, v14
	s_load_dwordx2 s[6:7], s[6:7], 0x0
	v_sub_nc_u32_e32 v11, v0, v6
	v_lshlrev_b64 v[6:7], 2, v[7:8]
	v_mad_u64_u32 v[9:10], null, s20, v11, 0
	v_add_nc_u32_e32 v24, 35, v11
	v_add_nc_u32_e32 v25, 0x46, v11
	;; [unrolled: 1-line block ×4, first 2 shown]
	v_mad_u64_u32 v[12:13], null, s20, v24, 0
	v_mov_b32_e32 v0, v10
	v_mad_u64_u32 v[14:15], null, s20, v25, 0
	s_waitcnt lgkmcnt(0)
	v_mul_lo_u32 v10, s7, v3
	v_mul_lo_u32 v28, s6, v4
	v_mad_u64_u32 v[18:19], null, s6, v3, 0
	v_mad_u64_u32 v[22:23], null, s21, v11, v[0:1]
	;; [unrolled: 1-line block ×4, first 2 shown]
	v_add3_u32 v19, v19, v28, v10
	v_mov_b32_e32 v0, v13
	v_mov_b32_e32 v8, v15
	;; [unrolled: 1-line block ×4, first 2 shown]
	v_lshlrev_b64 v[18:19], 2, v[18:19]
	v_mad_u64_u32 v[23:24], null, s21, v24, v[0:1]
	v_mov_b32_e32 v17, v21
	v_mad_u64_u32 v[21:22], null, s21, v25, v[8:9]
	v_add_co_u32 v0, s0, s8, v18
	v_lshlrev_b64 v[8:9], 2, v[9:10]
	v_add_co_ci_u32_e64 v10, s0, s9, v19, s0
	v_add_co_u32 v0, s0, v0, v6
	v_mad_u64_u32 v[24:25], null, s21, v26, v[13:14]
	v_mov_b32_e32 v13, v23
	v_add_co_ci_u32_e64 v10, s0, v10, v7, s0
	v_add_co_u32 v6, s0, v0, v8
	v_mov_b32_e32 v15, v21
	v_add_co_ci_u32_e64 v7, s0, v10, v9, s0
	v_lshlrev_b64 v[8:9], 2, v[12:13]
	v_mad_u64_u32 v[12:13], null, s21, v27, v[17:18]
	v_mov_b32_e32 v17, v24
	v_lshlrev_b64 v[13:14], 2, v[14:15]
	v_add_co_u32 v18, s0, v0, v8
	v_add_co_ci_u32_e64 v19, s0, v10, v9, s0
	v_mov_b32_e32 v21, v12
	v_lshlrev_b64 v[8:9], 2, v[16:17]
	v_add_co_u32 v15, s0, v0, v13
	v_add_co_ci_u32_e64 v16, s0, v10, v14, s0
	v_lshlrev_b64 v[12:13], 2, v[20:21]
	v_add_co_u32 v20, s0, v0, v8
	v_add_co_ci_u32_e64 v21, s0, v10, v9, s0
	v_add_co_u32 v22, s0, v0, v12
	v_add_co_ci_u32_e64 v23, s0, v10, v13, s0
	s_clause 0x4
	global_load_dword v9, v[6:7], off
	global_load_dword v13, v[18:19], off
	global_load_dword v12, v[15:16], off
	global_load_dword v10, v[20:21], off
	global_load_dword v6, v[22:23], off
.LBB0_12:
	s_or_b32 exec_lo, exec_lo, s1
	v_mul_hi_u32 v0, 0x24924925, v5
	s_waitcnt vmcnt(3)
	v_pk_add_f16 v7, v9, v13
	s_waitcnt vmcnt(1)
	v_pk_add_f16 v14, v12, v10
	s_waitcnt vmcnt(0)
	v_pk_add_f16 v15, v13, v6 neg_lo:[0,1] neg_hi:[0,1]
	v_pk_add_f16 v16, v12, v10 neg_lo:[0,1] neg_hi:[0,1]
	v_pk_add_f16 v19, v13, v6
	v_pk_add_f16 v17, v13, v12 neg_lo:[0,1] neg_hi:[0,1]
	v_pk_add_f16 v13, v12, v13 neg_lo:[0,1] neg_hi:[0,1]
	v_sub_nc_u32_e32 v8, v5, v0
	v_pk_add_f16 v7, v7, v12
	v_pk_fma_f16 v12, v14, 0.5, v9 op_sel_hi:[1,0,1] neg_lo:[1,0,0] neg_hi:[1,0,0]
	v_pk_mul_f16 v14, 0x3b9c, v15 op_sel_hi:[0,1]
	v_pk_mul_f16 v22, 0x38b4, v16 op_sel_hi:[0,1]
	v_lshrrev_b32_e32 v8, 1, v8
	v_pk_fma_f16 v9, v19, 0.5, v9 op_sel_hi:[1,0,1] neg_lo:[1,0,0] neg_hi:[1,0,0]
	v_pk_mul_f16 v16, 0x3b9c, v16 op_sel_hi:[0,1]
	v_pk_add_f16 v18, v6, v10 neg_lo:[0,1] neg_hi:[0,1]
	v_pk_add_f16 v20, v10, v6 neg_lo:[0,1] neg_hi:[0,1]
	v_add_nc_u32_e32 v0, v8, v0
	v_and_b32_e32 v8, 0xff, v11
	v_pk_mul_f16 v15, 0x38b4, v15 op_sel_hi:[0,1]
	v_pk_add_f16 v7, v7, v10
	v_pk_add_f16 v10, v12, v14 op_sel:[0,1] op_sel_hi:[1,0] neg_lo:[0,1] neg_hi:[0,1]
	v_lshrrev_b32_e32 v0, 2, v0
	v_mul_lo_u16 v8, 0xcd, v8
	v_pk_add_f16 v12, v12, v14 op_sel:[0,1] op_sel_hi:[1,0]
	v_pk_add_f16 v6, v6, v7
	v_pk_add_f16 v10, v10, v22 op_sel:[0,1] op_sel_hi:[1,0] neg_lo:[0,1] neg_hi:[0,1]
	v_mul_lo_u32 v0, v0, 7
	v_lshrrev_b16 v8, 10, v8
	v_pk_add_f16 v12, v12, v22 op_sel:[0,1] op_sel_hi:[1,0]
	v_mov_b32_e32 v21, 4
	v_pk_add_f16 v17, v17, v18
	v_pk_add_f16 v13, v13, v20
	v_mul_lo_u16 v7, v8, 5
	v_bfi_b32 v14, 0xffff, v10, v12
	v_sub_nc_u32_e32 v0, v5, v0
	v_pk_add_f16 v5, v9, v16 op_sel:[0,1] op_sel_hi:[1,0]
	v_pk_add_f16 v9, v9, v16 op_sel:[0,1] op_sel_hi:[1,0] neg_lo:[0,1] neg_hi:[0,1]
	s_load_dwordx2 s[4:5], s[4:5], 0x0
	v_cmp_gt_u32_e64 s0, 25, v11
	v_mul_u32_u24_e32 v0, 0xaf, v0
	v_pk_add_f16 v5, v5, v15 op_sel:[0,1] op_sel_hi:[1,0] neg_lo:[0,1] neg_hi:[0,1]
	v_pk_add_f16 v9, v9, v15 op_sel:[0,1] op_sel_hi:[1,0]
	v_lshlrev_b32_e32 v0, 2, v0
	v_bfi_b32 v15, 0xffff, v5, v9
	v_bfi_b32 v5, 0xffff, v9, v5
	v_bfi_b32 v9, 0xffff, v12, v10
	v_add_nc_u32_e32 v19, 0, v0
	v_sub_nc_u16 v10, v11, v7
	v_pk_fma_f16 v7, 0x34f2, v17, v14 op_sel_hi:[0,1,1]
	v_pk_fma_f16 v12, 0x34f2, v13, v15 op_sel_hi:[0,1,1]
	;; [unrolled: 1-line block ×3, first 2 shown]
	v_mad_u32_u24 v18, v11, 20, v19
	v_lshlrev_b32_sdwa v13, v21, v10 dst_sel:DWORD dst_unused:UNUSED_PAD src0_sel:DWORD src1_sel:BYTE_0
	v_pk_fma_f16 v9, 0x34f2, v17, v9 op_sel_hi:[0,1,1]
	v_lshl_add_u32 v19, v11, 2, v19
	ds_write2_b32 v18, v6, v7 offset1:1
	ds_write2_b32 v18, v12, v5 offset0:2 offset1:3
	ds_write_b32 v18, v9 offset:16
	s_waitcnt lgkmcnt(0)
	s_barrier
	buffer_gl0_inv
	global_load_dwordx4 v[13:16], v13, s[12:13]
	v_lshlrev_b32_e32 v5, 4, v11
	v_sub_nc_u32_e32 v9, v18, v5
	ds_read2_b32 v[6:7], v9 offset0:35 offset1:70
	ds_read2_b32 v[17:18], v9 offset0:105 offset1:140
	v_and_b32_e32 v5, 0xffff, v8
	v_mov_b32_e32 v8, 2
	v_mad_u32_u24 v5, 0x64, v5, 0
	v_lshlrev_b32_sdwa v8, v8, v10 dst_sel:DWORD dst_unused:UNUSED_PAD src0_sel:DWORD src1_sel:BYTE_0
	v_add3_u32 v10, v5, v8, v0
	ds_read_b32 v5, v19
	ds_read_u16 v12, v19 offset:2
	s_waitcnt vmcnt(0) lgkmcnt(0)
	s_barrier
	buffer_gl0_inv
	v_lshrrev_b32_e32 v0, 16, v6
	v_lshrrev_b32_e32 v8, 16, v7
	;; [unrolled: 1-line block ×4, first 2 shown]
	v_mul_f16_sdwa v22, v13, v0 dst_sel:DWORD dst_unused:UNUSED_PAD src0_sel:WORD_1 src1_sel:DWORD
	v_mul_f16_sdwa v23, v13, v6 dst_sel:DWORD dst_unused:UNUSED_PAD src0_sel:WORD_1 src1_sel:DWORD
	;; [unrolled: 1-line block ×8, first 2 shown]
	v_fmac_f16_e32 v22, v13, v6
	v_fma_f16 v0, v13, v0, -v23
	v_fmac_f16_e32 v24, v14, v7
	v_fma_f16 v7, v14, v8, -v25
	v_fmac_f16_e32 v26, v15, v17
	v_fma_f16 v15, v15, v20, -v27
	v_fmac_f16_e32 v28, v16, v18
	v_fma_f16 v13, v16, v21, -v29
	v_add_f16_e32 v6, v22, v5
	v_add_f16_e32 v8, v24, v26
	v_sub_f16_e32 v14, v22, v24
	v_sub_f16_e32 v16, v28, v26
	v_add_f16_e32 v25, v12, v0
	v_add_f16_e32 v27, v7, v15
	;; [unrolled: 1-line block ×4, first 2 shown]
	v_sub_f16_e32 v17, v0, v13
	v_sub_f16_e32 v21, v24, v22
	;; [unrolled: 1-line block ×8, first 2 shown]
	v_add_f16_e32 v24, v6, v24
	v_fma_f16 v6, -0.5, v8, v5
	v_add_f16_e32 v34, v14, v16
	v_add_f16_e32 v16, v25, v7
	v_fma_f16 v14, -0.5, v27, v12
	v_sub_f16_e32 v18, v7, v15
	v_fmac_f16_e32 v5, -0.5, v20
	v_fmac_f16_e32 v12, -0.5, v32
	v_sub_f16_e32 v31, v13, v15
	v_add_f16_e32 v20, v21, v23
	v_add_f16_e32 v23, v0, v33
	;; [unrolled: 1-line block ×3, first 2 shown]
	v_fmamk_f16 v7, v17, 0xbb9c, v6
	v_add_f16_e32 v24, v16, v15
	v_fmamk_f16 v15, v22, 0x3b9c, v14
	v_fmamk_f16 v8, v18, 0x3b9c, v5
	v_fmac_f16_e32 v5, 0xbb9c, v18
	v_fmamk_f16 v16, v29, 0xbb9c, v12
	v_fmac_f16_e32 v12, 0x3b9c, v29
	v_fmac_f16_e32 v6, 0x3b9c, v17
	;; [unrolled: 1-line block ×3, first 2 shown]
	v_add_f16_e32 v21, v30, v31
	v_fmac_f16_e32 v7, 0xb8b4, v18
	v_fmac_f16_e32 v15, 0x38b4, v29
	v_fmac_f16_e32 v8, 0xb8b4, v17
	v_fmac_f16_e32 v5, 0x38b4, v17
	v_fmac_f16_e32 v16, 0x38b4, v22
	v_fmac_f16_e32 v12, 0xb8b4, v22
	v_fmac_f16_e32 v6, 0x38b4, v18
	v_fmac_f16_e32 v14, 0xb8b4, v29
	v_add_f16_e32 v0, v0, v28
	v_add_f16_e32 v13, v24, v13
	v_fmac_f16_e32 v7, 0x34f2, v34
	v_fmac_f16_e32 v15, 0x34f2, v21
	;; [unrolled: 1-line block ×8, first 2 shown]
	v_pack_b32_f16 v17, v0, v13
	v_pack_b32_f16 v18, v7, v15
	;; [unrolled: 1-line block ×5, first 2 shown]
	ds_write2_b32 v10, v17, v18 offset1:5
	ds_write2_b32 v10, v20, v21 offset0:10 offset1:15
	ds_write_b32 v10, v22 offset:80
	s_waitcnt lgkmcnt(0)
	s_barrier
	buffer_gl0_inv
                                        ; implicit-def: $vgpr18
                                        ; implicit-def: $vgpr10
                                        ; implicit-def: $vgpr17
	s_and_saveexec_b32 s1, s0
	s_cbranch_execz .LBB0_14
; %bb.13:
	ds_read_b32 v0, v19
	ds_read2_b32 v[7:8], v9 offset0:25 offset1:50
	ds_read2_b32 v[5:6], v9 offset0:75 offset1:100
	;; [unrolled: 1-line block ×3, first 2 shown]
	s_waitcnt lgkmcnt(3)
	v_lshrrev_b32_e32 v13, 16, v0
	s_waitcnt lgkmcnt(2)
	v_lshrrev_b32_e32 v15, 16, v7
	v_lshrrev_b32_e32 v16, 16, v8
	s_waitcnt lgkmcnt(1)
	v_lshrrev_b32_e32 v12, 16, v5
	;; [unrolled: 3-line block ×3, first 2 shown]
	v_lshrrev_b32_e32 v18, 16, v10
.LBB0_14:
	s_or_b32 exec_lo, exec_lo, s1
	v_cmp_gt_u32_e64 s1, 25, v11
	s_and_b32 s1, vcc_lo, s1
	s_and_saveexec_b32 s6, s1
	s_cbranch_execz .LBB0_16
; %bb.15:
	v_subrev_nc_u32_e32 v19, 25, v11
	v_mov_b32_e32 v20, 0
	v_add_nc_u32_e32 v41, 25, v11
	v_mul_lo_u32 v37, s5, v3
	v_mul_lo_u32 v38, s4, v4
	v_cndmask_b32_e64 v19, v19, v11, s0
	v_mad_u64_u32 v[3:4], null, s4, v3, 0
	v_add_nc_u32_e32 v42, 50, v11
	v_mad_u64_u32 v[25:26], null, s2, v11, 0
	v_mul_i32_i24_e32 v19, 6, v19
	v_mad_u64_u32 v[27:28], null, s2, v41, 0
	v_add_nc_u32_e32 v43, 0x4b, v11
	v_mad_u64_u32 v[29:30], null, s2, v42, 0
	v_lshlrev_b64 v[19:20], 2, v[19:20]
	v_add_nc_u32_e32 v44, 0x64, v11
	v_add3_u32 v4, v4, v38, v37
	v_mad_u64_u32 v[31:32], null, s2, v43, 0
	v_add_nc_u32_e32 v45, 0x7d, v11
	v_add_co_u32 v23, vcc_lo, s12, v19
	v_add_co_ci_u32_e32 v24, vcc_lo, s13, v20, vcc_lo
	v_add_nc_u32_e32 v46, 0x96, v11
	s_clause 0x1
	global_load_dwordx4 v[19:22], v[23:24], off offset:80
	global_load_dwordx2 v[23:24], v[23:24], off offset:96
	v_mad_u64_u32 v[39:40], null, s3, v11, v[26:27]
	v_mov_b32_e32 v11, v28
	v_mad_u64_u32 v[33:34], null, s2, v44, 0
	v_lshlrev_b64 v[3:4], 2, v[3:4]
	v_mov_b32_e32 v26, v30
	v_mad_u64_u32 v[35:36], null, s2, v45, 0
	v_mad_u64_u32 v[40:41], null, s3, v41, v[11:12]
	v_mov_b32_e32 v28, v32
	v_lshlrev_b64 v[1:2], 2, v[1:2]
	v_mad_u64_u32 v[37:38], null, s2, v46, 0
	v_mad_u64_u32 v[41:42], null, s3, v42, v[26:27]
	v_add_co_u32 v3, vcc_lo, s10, v3
	v_mov_b32_e32 v30, v34
	v_add_co_ci_u32_e32 v4, vcc_lo, s11, v4, vcc_lo
	v_mov_b32_e32 v26, v39
	v_mad_u64_u32 v[42:43], null, s3, v43, v[28:29]
	v_mov_b32_e32 v32, v36
	v_add_co_u32 v11, vcc_lo, v3, v1
	v_mov_b32_e32 v28, v40
	v_mad_u64_u32 v[43:44], null, s3, v44, v[30:31]
	v_mov_b32_e32 v34, v38
	v_add_co_ci_u32_e32 v39, vcc_lo, v4, v2, vcc_lo
	v_lshlrev_b64 v[1:2], 2, v[25:26]
	v_mov_b32_e32 v30, v41
	v_mad_u64_u32 v[44:45], null, s3, v45, v[32:33]
	v_lshlrev_b64 v[3:4], 2, v[27:28]
	v_mov_b32_e32 v32, v42
	v_mad_u64_u32 v[45:46], null, s3, v46, v[34:35]
	v_lshlrev_b64 v[25:26], 2, v[29:30]
	v_add_co_u32 v1, vcc_lo, v11, v1
	v_mov_b32_e32 v34, v43
	v_add_co_ci_u32_e32 v2, vcc_lo, v39, v2, vcc_lo
	v_lshlrev_b64 v[27:28], 2, v[31:32]
	v_add_co_u32 v3, vcc_lo, v11, v3
	v_mov_b32_e32 v36, v44
	v_add_co_ci_u32_e32 v4, vcc_lo, v39, v4, vcc_lo
	;; [unrolled: 4-line block ×3, first 2 shown]
	v_lshlrev_b64 v[31:32], 2, v[35:36]
	v_add_co_u32 v27, vcc_lo, v11, v27
	v_add_co_ci_u32_e32 v28, vcc_lo, v39, v28, vcc_lo
	v_lshlrev_b64 v[33:34], 2, v[37:38]
	v_add_co_u32 v29, vcc_lo, v11, v29
	v_add_co_ci_u32_e32 v30, vcc_lo, v39, v30, vcc_lo
	v_add_co_u32 v31, vcc_lo, v11, v31
	v_add_co_ci_u32_e32 v32, vcc_lo, v39, v32, vcc_lo
	;; [unrolled: 2-line block ×3, first 2 shown]
	s_waitcnt vmcnt(1)
	v_mul_f16_sdwa v11, v15, v19 dst_sel:DWORD dst_unused:UNUSED_PAD src0_sel:DWORD src1_sel:WORD_1
	s_waitcnt vmcnt(0)
	v_mul_f16_sdwa v35, v18, v24 dst_sel:DWORD dst_unused:UNUSED_PAD src0_sel:DWORD src1_sel:WORD_1
	v_mul_f16_sdwa v36, v14, v22 dst_sel:DWORD dst_unused:UNUSED_PAD src0_sel:DWORD src1_sel:WORD_1
	;; [unrolled: 1-line block ×11, first 2 shown]
	v_fmac_f16_e32 v11, v7, v19
	v_fmac_f16_e32 v35, v10, v24
	;; [unrolled: 1-line block ×6, first 2 shown]
	v_fma_f16 v5, v18, v24, -v40
	v_fma_f16 v6, v15, v19, -v41
	;; [unrolled: 1-line block ×6, first 2 shown]
	v_sub_f16_e32 v12, v11, v35
	v_add_f16_e32 v16, v6, v5
	v_add_f16_e32 v18, v10, v9
	;; [unrolled: 1-line block ×4, first 2 shown]
	v_sub_f16_e32 v14, v36, v37
	v_sub_f16_e32 v15, v38, v39
	v_add_f16_e32 v17, v8, v7
	v_add_f16_e32 v19, v36, v37
	v_sub_f16_e32 v5, v6, v5
	v_sub_f16_e32 v6, v8, v7
	;; [unrolled: 1-line block ×3, first 2 shown]
	v_add_f16_e32 v22, v16, v18
	v_add_f16_e32 v35, v11, v20
	v_sub_f16_e32 v8, v12, v14
	v_sub_f16_e32 v9, v14, v15
	v_add_f16_e32 v10, v14, v15
	v_sub_f16_e32 v14, v16, v17
	v_sub_f16_e32 v21, v17, v18
	;; [unrolled: 1-line block ×6, first 2 shown]
	v_add_f16_e32 v6, v6, v7
	v_sub_f16_e32 v15, v15, v12
	v_sub_f16_e32 v7, v7, v5
	v_add_f16_e32 v17, v17, v22
	v_add_f16_e32 v19, v19, v35
	v_sub_f16_e32 v16, v18, v16
	v_sub_f16_e32 v11, v20, v11
	v_mul_f16_e32 v9, 0x3846, v9
	v_add_f16_e32 v10, v12, v10
	v_mul_f16_e32 v12, 0x3a52, v14
	v_mul_f16_e32 v18, 0x2b26, v21
	;; [unrolled: 1-line block ×5, first 2 shown]
	v_add_f16_e32 v5, v5, v6
	v_mul_f16_e32 v6, 0xbb00, v15
	v_mul_f16_e32 v24, 0xbb00, v7
	v_add_f16_e32 v13, v13, v17
	v_add_f16_e32 v0, v0, v19
	v_fmamk_f16 v35, v8, 0xb574, v9
	v_fmamk_f16 v14, v14, 0x3a52, v18
	;; [unrolled: 1-line block ×4, first 2 shown]
	v_fma_f16 v6, v8, 0x3574, -v6
	v_fma_f16 v8, v16, 0xb9e0, -v12
	;; [unrolled: 1-line block ×6, first 2 shown]
	v_fmamk_f16 v15, v17, 0xbcab, v13
	v_fmamk_f16 v17, v19, 0xbcab, v0
	v_fma_f16 v16, v16, 0x39e0, -v18
	v_fma_f16 v11, v11, 0x39e0, -v21
	v_fmac_f16_e32 v35, 0xb70e, v10
	v_fmac_f16_e32 v37, 0xb70e, v5
	;; [unrolled: 1-line block ×6, first 2 shown]
	v_pack_b32_f16 v0, v0, v13
	v_add_f16_e32 v5, v14, v15
	v_add_f16_e32 v10, v23, v17
	;; [unrolled: 1-line block ×6, first 2 shown]
	global_store_dword v[1:2], v0, off
	v_add_f16_e32 v0, v35, v5
	v_add_f16_e32 v2, v6, v8
	v_sub_f16_e32 v6, v8, v6
	v_sub_f16_e32 v5, v5, v35
	v_add_f16_e32 v8, v37, v10
	v_sub_f16_e32 v1, v10, v37
	v_add_f16_e32 v10, v20, v12
	;; [unrolled: 2-line block ×4, first 2 shown]
	v_sub_f16_e32 v11, v12, v20
	v_pack_b32_f16 v5, v8, v5
	v_pack_b32_f16 v6, v10, v6
	;; [unrolled: 1-line block ×6, first 2 shown]
	global_store_dword v[3:4], v5, off
	global_store_dword v[25:26], v6, off
	;; [unrolled: 1-line block ×6, first 2 shown]
.LBB0_16:
	s_endpgm
	.section	.rodata,"a",@progbits
	.p2align	6, 0x0
	.amdhsa_kernel fft_rtc_back_len175_factors_5_5_7_wgs_245_tpt_35_half_op_CI_CI_sbrr_dirReg
		.amdhsa_group_segment_fixed_size 0
		.amdhsa_private_segment_fixed_size 0
		.amdhsa_kernarg_size 104
		.amdhsa_user_sgpr_count 6
		.amdhsa_user_sgpr_private_segment_buffer 1
		.amdhsa_user_sgpr_dispatch_ptr 0
		.amdhsa_user_sgpr_queue_ptr 0
		.amdhsa_user_sgpr_kernarg_segment_ptr 1
		.amdhsa_user_sgpr_dispatch_id 0
		.amdhsa_user_sgpr_flat_scratch_init 0
		.amdhsa_user_sgpr_private_segment_size 0
		.amdhsa_wavefront_size32 1
		.amdhsa_uses_dynamic_stack 0
		.amdhsa_system_sgpr_private_segment_wavefront_offset 0
		.amdhsa_system_sgpr_workgroup_id_x 1
		.amdhsa_system_sgpr_workgroup_id_y 0
		.amdhsa_system_sgpr_workgroup_id_z 0
		.amdhsa_system_sgpr_workgroup_info 0
		.amdhsa_system_vgpr_workitem_id 0
		.amdhsa_next_free_vgpr 47
		.amdhsa_next_free_sgpr 31
		.amdhsa_reserve_vcc 1
		.amdhsa_reserve_flat_scratch 0
		.amdhsa_float_round_mode_32 0
		.amdhsa_float_round_mode_16_64 0
		.amdhsa_float_denorm_mode_32 3
		.amdhsa_float_denorm_mode_16_64 3
		.amdhsa_dx10_clamp 1
		.amdhsa_ieee_mode 1
		.amdhsa_fp16_overflow 0
		.amdhsa_workgroup_processor_mode 1
		.amdhsa_memory_ordered 1
		.amdhsa_forward_progress 0
		.amdhsa_shared_vgpr_count 0
		.amdhsa_exception_fp_ieee_invalid_op 0
		.amdhsa_exception_fp_denorm_src 0
		.amdhsa_exception_fp_ieee_div_zero 0
		.amdhsa_exception_fp_ieee_overflow 0
		.amdhsa_exception_fp_ieee_underflow 0
		.amdhsa_exception_fp_ieee_inexact 0
		.amdhsa_exception_int_div_zero 0
	.end_amdhsa_kernel
	.text
.Lfunc_end0:
	.size	fft_rtc_back_len175_factors_5_5_7_wgs_245_tpt_35_half_op_CI_CI_sbrr_dirReg, .Lfunc_end0-fft_rtc_back_len175_factors_5_5_7_wgs_245_tpt_35_half_op_CI_CI_sbrr_dirReg
                                        ; -- End function
	.section	.AMDGPU.csdata,"",@progbits
; Kernel info:
; codeLenInByte = 4152
; NumSgprs: 33
; NumVgprs: 47
; ScratchSize: 0
; MemoryBound: 0
; FloatMode: 240
; IeeeMode: 1
; LDSByteSize: 0 bytes/workgroup (compile time only)
; SGPRBlocks: 4
; VGPRBlocks: 5
; NumSGPRsForWavesPerEU: 33
; NumVGPRsForWavesPerEU: 47
; Occupancy: 16
; WaveLimiterHint : 1
; COMPUTE_PGM_RSRC2:SCRATCH_EN: 0
; COMPUTE_PGM_RSRC2:USER_SGPR: 6
; COMPUTE_PGM_RSRC2:TRAP_HANDLER: 0
; COMPUTE_PGM_RSRC2:TGID_X_EN: 1
; COMPUTE_PGM_RSRC2:TGID_Y_EN: 0
; COMPUTE_PGM_RSRC2:TGID_Z_EN: 0
; COMPUTE_PGM_RSRC2:TIDIG_COMP_CNT: 0
	.text
	.p2alignl 6, 3214868480
	.fill 48, 4, 3214868480
	.type	__hip_cuid_9ef269d1e4b56627,@object ; @__hip_cuid_9ef269d1e4b56627
	.section	.bss,"aw",@nobits
	.globl	__hip_cuid_9ef269d1e4b56627
__hip_cuid_9ef269d1e4b56627:
	.byte	0                               ; 0x0
	.size	__hip_cuid_9ef269d1e4b56627, 1

	.ident	"AMD clang version 19.0.0git (https://github.com/RadeonOpenCompute/llvm-project roc-6.4.0 25133 c7fe45cf4b819c5991fe208aaa96edf142730f1d)"
	.section	".note.GNU-stack","",@progbits
	.addrsig
	.addrsig_sym __hip_cuid_9ef269d1e4b56627
	.amdgpu_metadata
---
amdhsa.kernels:
  - .args:
      - .actual_access:  read_only
        .address_space:  global
        .offset:         0
        .size:           8
        .value_kind:     global_buffer
      - .offset:         8
        .size:           8
        .value_kind:     by_value
      - .actual_access:  read_only
        .address_space:  global
        .offset:         16
        .size:           8
        .value_kind:     global_buffer
      - .actual_access:  read_only
        .address_space:  global
        .offset:         24
        .size:           8
        .value_kind:     global_buffer
      - .actual_access:  read_only
        .address_space:  global
        .offset:         32
        .size:           8
        .value_kind:     global_buffer
      - .offset:         40
        .size:           8
        .value_kind:     by_value
      - .actual_access:  read_only
        .address_space:  global
        .offset:         48
        .size:           8
        .value_kind:     global_buffer
      - .actual_access:  read_only
        .address_space:  global
        .offset:         56
        .size:           8
        .value_kind:     global_buffer
      - .offset:         64
        .size:           4
        .value_kind:     by_value
      - .actual_access:  read_only
        .address_space:  global
        .offset:         72
        .size:           8
        .value_kind:     global_buffer
      - .actual_access:  read_only
        .address_space:  global
        .offset:         80
        .size:           8
        .value_kind:     global_buffer
      - .actual_access:  read_only
        .address_space:  global
        .offset:         88
        .size:           8
        .value_kind:     global_buffer
      - .actual_access:  write_only
        .address_space:  global
        .offset:         96
        .size:           8
        .value_kind:     global_buffer
    .group_segment_fixed_size: 0
    .kernarg_segment_align: 8
    .kernarg_segment_size: 104
    .language:       OpenCL C
    .language_version:
      - 2
      - 0
    .max_flat_workgroup_size: 245
    .name:           fft_rtc_back_len175_factors_5_5_7_wgs_245_tpt_35_half_op_CI_CI_sbrr_dirReg
    .private_segment_fixed_size: 0
    .sgpr_count:     33
    .sgpr_spill_count: 0
    .symbol:         fft_rtc_back_len175_factors_5_5_7_wgs_245_tpt_35_half_op_CI_CI_sbrr_dirReg.kd
    .uniform_work_group_size: 1
    .uses_dynamic_stack: false
    .vgpr_count:     47
    .vgpr_spill_count: 0
    .wavefront_size: 32
    .workgroup_processor_mode: 1
amdhsa.target:   amdgcn-amd-amdhsa--gfx1030
amdhsa.version:
  - 1
  - 2
...

	.end_amdgpu_metadata
